;; amdgpu-corpus repo=zjin-lcf/HeCBench kind=compiled arch=gfx906 opt=O3
	.amdgcn_target "amdgcn-amd-amdhsa--gfx906"
	.amdhsa_code_object_version 6
	.text
	.protected	_Z4qrngPfPKjjj          ; -- Begin function _Z4qrngPfPKjjj
	.globl	_Z4qrngPfPKjjj
	.p2align	8
	.type	_Z4qrngPfPKjjj,@function
_Z4qrngPfPKjjj:                         ; @_Z4qrngPfPKjjj
; %bb.0:
	s_load_dword s0, s[4:5], 0x24
	s_load_dwordx2 s[8:9], s[4:5], 0x10
	s_add_u32 s10, s4, 24
	s_addc_u32 s11, s5, 0
	s_waitcnt lgkmcnt(0)
	s_and_b32 s7, s0, 0xffff
	s_mul_i32 s6, s6, s7
	v_add_u32_e32 v4, s6, v0
	v_cmp_gt_u32_e32 vcc, s9, v4
	s_and_saveexec_b64 s[0:1], vcc
	s_cbranch_execz .LBB0_65
; %bb.1:
	s_load_dword s6, s[10:11], 0x0
	s_load_dwordx4 s[0:3], s[4:5], 0x0
	v_mul_u32_u24_e32 v0, 31, v1
	v_lshlrev_b32_e32 v0, 2, v0
	v_mul_i32_i24_e32 v5, s9, v1
	s_waitcnt lgkmcnt(0)
	s_mul_i32 s6, s6, s7
	v_mov_b32_e32 v3, s3
	v_add_co_u32_e32 v2, vcc, s2, v0
	v_mov_b32_e32 v1, 0
	v_addc_co_u32_e32 v3, vcc, 0, v3, vcc
	s_mov_b64 s[2:3], 0
	s_branch .LBB0_3
.LBB0_2:                                ;   in Loop: Header=BB0_3 Depth=1
	s_or_b64 exec, exec, s[4:5]
	s_waitcnt vmcnt(0)
	v_add_u32_e32 v0, 1, v0
	v_cvt_f32_u32_e32 v8, v0
	v_add_u32_e32 v0, v5, v4
	v_lshlrev_b64 v[6:7], 2, v[0:1]
	v_mov_b32_e32 v9, s1
	v_add_co_u32_e32 v6, vcc, s0, v6
	v_addc_co_u32_e32 v7, vcc, v9, v7, vcc
	v_add_u32_e32 v4, s6, v4
	v_cmp_le_u32_e32 vcc, s9, v4
	v_mul_f32_e32 v0, 0x30000000, v8
	s_or_b64 s[2:3], vcc, s[2:3]
	global_store_dword v[6:7], v0, off
	s_andn2_b64 exec, exec, s[2:3]
	s_cbranch_execz .LBB0_65
.LBB0_3:                                ; =>This Inner Loop Header: Depth=1
	v_add_u32_e32 v6, s8, v4
	v_and_b32_e32 v0, 1, v6
	v_cmp_eq_u32_e32 vcc, 1, v0
	v_mov_b32_e32 v0, 0
	s_and_saveexec_b64 s[4:5], vcc
	s_cbranch_execz .LBB0_5
; %bb.4:                                ;   in Loop: Header=BB0_3 Depth=1
	global_load_dword v0, v[2:3], off
.LBB0_5:                                ;   in Loop: Header=BB0_3 Depth=1
	s_or_b64 exec, exec, s[4:5]
	v_and_b32_e32 v7, 2, v6
	v_cmp_ne_u32_e32 vcc, 0, v7
	s_and_saveexec_b64 s[4:5], vcc
	s_cbranch_execz .LBB0_7
; %bb.6:                                ;   in Loop: Header=BB0_3 Depth=1
	global_load_dword v7, v[2:3], off offset:4
	s_waitcnt vmcnt(0)
	v_xor_b32_e32 v0, v7, v0
.LBB0_7:                                ;   in Loop: Header=BB0_3 Depth=1
	s_or_b64 exec, exec, s[4:5]
	v_and_b32_e32 v7, 4, v6
	v_cmp_ne_u32_e32 vcc, 0, v7
	s_and_saveexec_b64 s[4:5], vcc
	s_cbranch_execz .LBB0_9
; %bb.8:                                ;   in Loop: Header=BB0_3 Depth=1
	global_load_dword v7, v[2:3], off offset:8
	s_waitcnt vmcnt(0)
	v_xor_b32_e32 v0, v7, v0
.LBB0_9:                                ;   in Loop: Header=BB0_3 Depth=1
	s_or_b64 exec, exec, s[4:5]
	v_and_b32_e32 v7, 8, v6
	v_cmp_ne_u32_e32 vcc, 0, v7
	s_and_saveexec_b64 s[4:5], vcc
	s_cbranch_execz .LBB0_11
; %bb.10:                               ;   in Loop: Header=BB0_3 Depth=1
	global_load_dword v7, v[2:3], off offset:12
	s_waitcnt vmcnt(0)
	v_xor_b32_e32 v0, v7, v0
.LBB0_11:                               ;   in Loop: Header=BB0_3 Depth=1
	s_or_b64 exec, exec, s[4:5]
	v_and_b32_e32 v7, 16, v6
	v_cmp_ne_u32_e32 vcc, 0, v7
	s_and_saveexec_b64 s[4:5], vcc
	s_cbranch_execz .LBB0_13
; %bb.12:                               ;   in Loop: Header=BB0_3 Depth=1
	global_load_dword v7, v[2:3], off offset:16
	s_waitcnt vmcnt(0)
	v_xor_b32_e32 v0, v7, v0
.LBB0_13:                               ;   in Loop: Header=BB0_3 Depth=1
	;; [unrolled: 10-line block ×27, first 2 shown]
	s_or_b64 exec, exec, s[4:5]
	v_and_b32_e32 v6, 2.0, v6
	v_cmp_ne_u32_e32 vcc, 0, v6
	s_and_saveexec_b64 s[4:5], vcc
	s_cbranch_execz .LBB0_2
; %bb.64:                               ;   in Loop: Header=BB0_3 Depth=1
	global_load_dword v6, v[2:3], off offset:120
	s_waitcnt vmcnt(0)
	v_xor_b32_e32 v0, v6, v0
	s_branch .LBB0_2
.LBB0_65:
	s_endpgm
	.section	.rodata,"a",@progbits
	.p2align	6, 0x0
	.amdhsa_kernel _Z4qrngPfPKjjj
		.amdhsa_group_segment_fixed_size 0
		.amdhsa_private_segment_fixed_size 0
		.amdhsa_kernarg_size 280
		.amdhsa_user_sgpr_count 6
		.amdhsa_user_sgpr_private_segment_buffer 1
		.amdhsa_user_sgpr_dispatch_ptr 0
		.amdhsa_user_sgpr_queue_ptr 0
		.amdhsa_user_sgpr_kernarg_segment_ptr 1
		.amdhsa_user_sgpr_dispatch_id 0
		.amdhsa_user_sgpr_flat_scratch_init 0
		.amdhsa_user_sgpr_private_segment_size 0
		.amdhsa_uses_dynamic_stack 0
		.amdhsa_system_sgpr_private_segment_wavefront_offset 0
		.amdhsa_system_sgpr_workgroup_id_x 1
		.amdhsa_system_sgpr_workgroup_id_y 0
		.amdhsa_system_sgpr_workgroup_id_z 0
		.amdhsa_system_sgpr_workgroup_info 0
		.amdhsa_system_vgpr_workitem_id 1
		.amdhsa_next_free_vgpr 10
		.amdhsa_next_free_sgpr 12
		.amdhsa_reserve_vcc 1
		.amdhsa_reserve_flat_scratch 0
		.amdhsa_float_round_mode_32 0
		.amdhsa_float_round_mode_16_64 0
		.amdhsa_float_denorm_mode_32 3
		.amdhsa_float_denorm_mode_16_64 3
		.amdhsa_dx10_clamp 1
		.amdhsa_ieee_mode 1
		.amdhsa_fp16_overflow 0
		.amdhsa_exception_fp_ieee_invalid_op 0
		.amdhsa_exception_fp_denorm_src 0
		.amdhsa_exception_fp_ieee_div_zero 0
		.amdhsa_exception_fp_ieee_overflow 0
		.amdhsa_exception_fp_ieee_underflow 0
		.amdhsa_exception_fp_ieee_inexact 0
		.amdhsa_exception_int_div_zero 0
	.end_amdhsa_kernel
	.text
.Lfunc_end0:
	.size	_Z4qrngPfPKjjj, .Lfunc_end0-_Z4qrngPfPKjjj
                                        ; -- End function
	.set _Z4qrngPfPKjjj.num_vgpr, 10
	.set _Z4qrngPfPKjjj.num_agpr, 0
	.set _Z4qrngPfPKjjj.numbered_sgpr, 12
	.set _Z4qrngPfPKjjj.num_named_barrier, 0
	.set _Z4qrngPfPKjjj.private_seg_size, 0
	.set _Z4qrngPfPKjjj.uses_vcc, 1
	.set _Z4qrngPfPKjjj.uses_flat_scratch, 0
	.set _Z4qrngPfPKjjj.has_dyn_sized_stack, 0
	.set _Z4qrngPfPKjjj.has_recursion, 0
	.set _Z4qrngPfPKjjj.has_indirect_call, 0
	.section	.AMDGPU.csdata,"",@progbits
; Kernel info:
; codeLenInByte = 1404
; TotalNumSgprs: 16
; NumVgprs: 10
; ScratchSize: 0
; MemoryBound: 0
; FloatMode: 240
; IeeeMode: 1
; LDSByteSize: 0 bytes/workgroup (compile time only)
; SGPRBlocks: 1
; VGPRBlocks: 2
; NumSGPRsForWavesPerEU: 16
; NumVGPRsForWavesPerEU: 10
; Occupancy: 10
; WaveLimiterHint : 0
; COMPUTE_PGM_RSRC2:SCRATCH_EN: 0
; COMPUTE_PGM_RSRC2:USER_SGPR: 6
; COMPUTE_PGM_RSRC2:TRAP_HANDLER: 0
; COMPUTE_PGM_RSRC2:TGID_X_EN: 1
; COMPUTE_PGM_RSRC2:TGID_Y_EN: 0
; COMPUTE_PGM_RSRC2:TGID_Z_EN: 0
; COMPUTE_PGM_RSRC2:TIDIG_COMP_CNT: 1
	.text
	.protected	_Z4icndPfjj             ; -- Begin function _Z4icndPfjj
	.globl	_Z4icndPfjj
	.p2align	8
	.type	_Z4icndPfjj,@function
_Z4icndPfjj:                            ; @_Z4icndPfjj
; %bb.0:
	s_load_dword s7, s[4:5], 0x1c
	s_load_dwordx2 s[0:1], s[4:5], 0x8
	s_add_u32 s2, s4, 16
	s_addc_u32 s3, s5, 0
	s_waitcnt lgkmcnt(0)
	s_and_b32 s7, s7, 0xffff
	s_mul_i32 s6, s6, s7
	v_add_u32_e32 v0, s6, v0
	v_cmp_gt_u32_e32 vcc, s0, v0
	s_and_saveexec_b64 s[8:9], vcc
	s_cbranch_execz .LBB1_7
; %bb.1:
	s_load_dword s8, s[2:3], 0x0
	v_mul_lo_u32 v1, s1, v0
	s_load_dwordx2 s[2:3], s[4:5], 0x0
	s_mov_b64 s[4:5], 0
	s_mov_b32 s9, 0xbed70a3d
	s_waitcnt lgkmcnt(0)
	s_mul_i32 s8, s8, s7
	v_add_u32_e32 v2, s1, v1
	s_mul_i32 s1, s8, s1
	s_mov_b32 s10, 0x800000
	s_mov_b32 s11, 0x3f317217
	;; [unrolled: 1-line block ×4, first 2 shown]
	v_mov_b32_e32 v3, 0x3806f590
	v_mov_b32_e32 v4, 0x39cf3175
	;; [unrolled: 1-line block ×14, first 2 shown]
	s_branch .LBB1_3
.LBB1_2:                                ;   in Loop: Header=BB1_3 Depth=1
	s_or_b64 exec, exec, s[6:7]
	v_cmp_gt_i32_e32 vcc, 0, v2
	v_cndmask_b32_e64 v18, v16, -v16, vcc
	v_lshlrev_b64 v[16:17], 2, v[0:1]
	v_add_u32_e32 v0, s8, v0
	v_add_co_u32_e32 v16, vcc, s2, v16
	v_addc_co_u32_e32 v17, vcc, v14, v17, vcc
	v_cmp_le_u32_e32 vcc, s0, v0
	s_or_b64 s[4:5], vcc, s[4:5]
	v_add_u32_e32 v2, s1, v2
	global_store_dword v[16:17], v18, off
	s_andn2_b64 exec, exec, s[4:5]
	s_cbranch_execz .LBB1_7
.LBB1_3:                                ; =>This Inner Loop Header: Depth=1
	v_ashrrev_i32_e32 v16, 31, v2
	v_xor_b32_e32 v16, v16, v2
	v_cvt_f32_u32_e32 v16, v16
	v_mov_b32_e32 v18, 0x2f000000
	v_fmac_f32_e32 v18, 0x2f800000, v16
	v_add_f32_e32 v17, -0.5, v18
	v_cmp_nlt_f32_e32 vcc, s9, v17
                                        ; implicit-def: $vgpr16
	s_and_saveexec_b64 s[6:7], vcc
	s_xor_b64 s[6:7], exec, s[6:7]
	s_cbranch_execz .LBB1_5
; %bb.4:                                ;   in Loop: Header=BB1_3 Depth=1
	v_cmp_gt_f32_e32 vcc, s10, v18
	v_cndmask_b32_e64 v16, 0, 32, vcc
	v_ldexp_f32 v16, v18, v16
	v_log_f32_e32 v16, v16
	v_cndmask_b32_e32 v17, 0, v15, vcc
	v_mul_f32_e32 v18, 0x3f317217, v16
	v_fma_f32 v18, v16, s11, -v18
	v_fmac_f32_e32 v18, 0x3377d1cf, v16
	v_fmac_f32_e32 v18, 0x3f317217, v16
	v_cmp_lt_f32_e64 vcc, |v16|, s12
	v_cndmask_b32_e32 v16, v16, v18, vcc
	v_sub_f32_e32 v16, v16, v17
	v_cmp_lt_f32_e32 vcc, s13, v16
	v_cndmask_b32_e64 v17, 0, 32, vcc
	v_ldexp_f32 v16, -v16, v17
	v_log_f32_e32 v16, v16
	v_cndmask_b32_e32 v17, 0, v15, vcc
	v_mul_f32_e32 v18, 0x3f317217, v16
	v_fma_f32 v18, v16, s11, -v18
	v_fmac_f32_e32 v18, 0x3377d1cf, v16
	v_fmac_f32_e32 v18, 0x3f317217, v16
	v_cmp_lt_f32_e64 vcc, |v16|, s12
	v_cndmask_b32_e32 v16, v16, v18, vcc
	v_sub_f32_e32 v16, v16, v17
	v_mov_b32_e32 v17, 0x349b0eac
	v_fmac_f32_e32 v17, 0x34d49e28, v16
	v_fma_f32 v17, v16, v17, v3
	v_fma_f32 v17, v16, v17, v4
	;; [unrolled: 1-line block ×7, first 2 shown]
	v_xor_b32_e32 v16, 0x80000000, v16
                                        ; implicit-def: $vgpr17
.LBB1_5:                                ;   in Loop: Header=BB1_3 Depth=1
	s_andn2_saveexec_b64 s[6:7], s[6:7]
	s_cbranch_execz .LBB1_2
; %bb.6:                                ;   in Loop: Header=BB1_3 Depth=1
	v_mul_f32_e32 v16, v17, v17
	v_mov_b32_e32 v18, 0x42259096
	v_fmac_f32_e32 v18, 0xc1cb874b, v16
	v_fma_f32 v18, v16, v18, v10
	v_fma_f32 v18, v16, v18, v11
	v_mul_f32_e32 v17, v17, v18
	v_mov_b32_e32 v18, 0xc1a87f78
	v_fmac_f32_e32 v18, 0x40485f81, v16
	v_fma_f32 v18, v16, v18, v12
	v_fma_f32 v18, v16, v18, v13
	v_fma_f32 v16, v16, v18, 1.0
	v_div_scale_f32 v18, s[14:15], v16, v16, v17
	v_div_scale_f32 v19, vcc, v17, v16, v17
	v_rcp_f32_e32 v20, v18
	v_fma_f32 v21, -v18, v20, 1.0
	v_fmac_f32_e32 v20, v21, v20
	v_mul_f32_e32 v21, v19, v20
	v_fma_f32 v22, -v18, v21, v19
	v_fmac_f32_e32 v21, v22, v20
	v_fma_f32 v18, -v18, v21, v19
	v_div_fmas_f32 v18, v18, v20, v21
	v_div_fixup_f32 v16, v18, v16, v17
	s_branch .LBB1_2
.LBB1_7:
	s_endpgm
	.section	.rodata,"a",@progbits
	.p2align	6, 0x0
	.amdhsa_kernel _Z4icndPfjj
		.amdhsa_group_segment_fixed_size 0
		.amdhsa_private_segment_fixed_size 0
		.amdhsa_kernarg_size 272
		.amdhsa_user_sgpr_count 6
		.amdhsa_user_sgpr_private_segment_buffer 1
		.amdhsa_user_sgpr_dispatch_ptr 0
		.amdhsa_user_sgpr_queue_ptr 0
		.amdhsa_user_sgpr_kernarg_segment_ptr 1
		.amdhsa_user_sgpr_dispatch_id 0
		.amdhsa_user_sgpr_flat_scratch_init 0
		.amdhsa_user_sgpr_private_segment_size 0
		.amdhsa_uses_dynamic_stack 0
		.amdhsa_system_sgpr_private_segment_wavefront_offset 0
		.amdhsa_system_sgpr_workgroup_id_x 1
		.amdhsa_system_sgpr_workgroup_id_y 0
		.amdhsa_system_sgpr_workgroup_id_z 0
		.amdhsa_system_sgpr_workgroup_info 0
		.amdhsa_system_vgpr_workitem_id 0
		.amdhsa_next_free_vgpr 23
		.amdhsa_next_free_sgpr 16
		.amdhsa_reserve_vcc 1
		.amdhsa_reserve_flat_scratch 0
		.amdhsa_float_round_mode_32 0
		.amdhsa_float_round_mode_16_64 0
		.amdhsa_float_denorm_mode_32 3
		.amdhsa_float_denorm_mode_16_64 3
		.amdhsa_dx10_clamp 1
		.amdhsa_ieee_mode 1
		.amdhsa_fp16_overflow 0
		.amdhsa_exception_fp_ieee_invalid_op 0
		.amdhsa_exception_fp_denorm_src 0
		.amdhsa_exception_fp_ieee_div_zero 0
		.amdhsa_exception_fp_ieee_overflow 0
		.amdhsa_exception_fp_ieee_underflow 0
		.amdhsa_exception_fp_ieee_inexact 0
		.amdhsa_exception_int_div_zero 0
	.end_amdhsa_kernel
	.text
.Lfunc_end1:
	.size	_Z4icndPfjj, .Lfunc_end1-_Z4icndPfjj
                                        ; -- End function
	.set _Z4icndPfjj.num_vgpr, 23
	.set _Z4icndPfjj.num_agpr, 0
	.set _Z4icndPfjj.numbered_sgpr, 16
	.set _Z4icndPfjj.num_named_barrier, 0
	.set _Z4icndPfjj.private_seg_size, 0
	.set _Z4icndPfjj.uses_vcc, 1
	.set _Z4icndPfjj.uses_flat_scratch, 0
	.set _Z4icndPfjj.has_dyn_sized_stack, 0
	.set _Z4icndPfjj.has_recursion, 0
	.set _Z4icndPfjj.has_indirect_call, 0
	.section	.AMDGPU.csdata,"",@progbits
; Kernel info:
; codeLenInByte = 760
; TotalNumSgprs: 20
; NumVgprs: 23
; ScratchSize: 0
; MemoryBound: 0
; FloatMode: 240
; IeeeMode: 1
; LDSByteSize: 0 bytes/workgroup (compile time only)
; SGPRBlocks: 2
; VGPRBlocks: 5
; NumSGPRsForWavesPerEU: 20
; NumVGPRsForWavesPerEU: 23
; Occupancy: 10
; WaveLimiterHint : 0
; COMPUTE_PGM_RSRC2:SCRATCH_EN: 0
; COMPUTE_PGM_RSRC2:USER_SGPR: 6
; COMPUTE_PGM_RSRC2:TRAP_HANDLER: 0
; COMPUTE_PGM_RSRC2:TGID_X_EN: 1
; COMPUTE_PGM_RSRC2:TGID_Y_EN: 0
; COMPUTE_PGM_RSRC2:TGID_Z_EN: 0
; COMPUTE_PGM_RSRC2:TIDIG_COMP_CNT: 0
	.section	.AMDGPU.gpr_maximums,"",@progbits
	.set amdgpu.max_num_vgpr, 0
	.set amdgpu.max_num_agpr, 0
	.set amdgpu.max_num_sgpr, 0
	.section	.AMDGPU.csdata,"",@progbits
	.type	__hip_cuid_7e35e5a9a22fb0a5,@object ; @__hip_cuid_7e35e5a9a22fb0a5
	.section	.bss,"aw",@nobits
	.globl	__hip_cuid_7e35e5a9a22fb0a5
__hip_cuid_7e35e5a9a22fb0a5:
	.byte	0                               ; 0x0
	.size	__hip_cuid_7e35e5a9a22fb0a5, 1

	.ident	"AMD clang version 22.0.0git (https://github.com/RadeonOpenCompute/llvm-project roc-7.2.4 26084 f58b06dce1f9c15707c5f808fd002e18c2accf7e)"
	.section	".note.GNU-stack","",@progbits
	.addrsig
	.addrsig_sym __hip_cuid_7e35e5a9a22fb0a5
	.amdgpu_metadata
---
amdhsa.kernels:
  - .args:
      - .address_space:  global
        .offset:         0
        .size:           8
        .value_kind:     global_buffer
      - .address_space:  global
        .offset:         8
        .size:           8
        .value_kind:     global_buffer
      - .offset:         16
        .size:           4
        .value_kind:     by_value
      - .offset:         20
        .size:           4
        .value_kind:     by_value
      - .offset:         24
        .size:           4
        .value_kind:     hidden_block_count_x
      - .offset:         28
        .size:           4
        .value_kind:     hidden_block_count_y
      - .offset:         32
        .size:           4
        .value_kind:     hidden_block_count_z
      - .offset:         36
        .size:           2
        .value_kind:     hidden_group_size_x
      - .offset:         38
        .size:           2
        .value_kind:     hidden_group_size_y
      - .offset:         40
        .size:           2
        .value_kind:     hidden_group_size_z
      - .offset:         42
        .size:           2
        .value_kind:     hidden_remainder_x
      - .offset:         44
        .size:           2
        .value_kind:     hidden_remainder_y
      - .offset:         46
        .size:           2
        .value_kind:     hidden_remainder_z
      - .offset:         64
        .size:           8
        .value_kind:     hidden_global_offset_x
      - .offset:         72
        .size:           8
        .value_kind:     hidden_global_offset_y
      - .offset:         80
        .size:           8
        .value_kind:     hidden_global_offset_z
      - .offset:         88
        .size:           2
        .value_kind:     hidden_grid_dims
    .group_segment_fixed_size: 0
    .kernarg_segment_align: 8
    .kernarg_segment_size: 280
    .language:       OpenCL C
    .language_version:
      - 2
      - 0
    .max_flat_workgroup_size: 1024
    .name:           _Z4qrngPfPKjjj
    .private_segment_fixed_size: 0
    .sgpr_count:     16
    .sgpr_spill_count: 0
    .symbol:         _Z4qrngPfPKjjj.kd
    .uniform_work_group_size: 1
    .uses_dynamic_stack: false
    .vgpr_count:     10
    .vgpr_spill_count: 0
    .wavefront_size: 64
  - .args:
      - .address_space:  global
        .offset:         0
        .size:           8
        .value_kind:     global_buffer
      - .offset:         8
        .size:           4
        .value_kind:     by_value
      - .offset:         12
        .size:           4
        .value_kind:     by_value
      - .offset:         16
        .size:           4
        .value_kind:     hidden_block_count_x
      - .offset:         20
        .size:           4
        .value_kind:     hidden_block_count_y
      - .offset:         24
        .size:           4
        .value_kind:     hidden_block_count_z
      - .offset:         28
        .size:           2
        .value_kind:     hidden_group_size_x
      - .offset:         30
        .size:           2
        .value_kind:     hidden_group_size_y
      - .offset:         32
        .size:           2
        .value_kind:     hidden_group_size_z
      - .offset:         34
        .size:           2
        .value_kind:     hidden_remainder_x
      - .offset:         36
        .size:           2
        .value_kind:     hidden_remainder_y
      - .offset:         38
        .size:           2
        .value_kind:     hidden_remainder_z
      - .offset:         56
        .size:           8
        .value_kind:     hidden_global_offset_x
      - .offset:         64
        .size:           8
        .value_kind:     hidden_global_offset_y
      - .offset:         72
        .size:           8
        .value_kind:     hidden_global_offset_z
      - .offset:         80
        .size:           2
        .value_kind:     hidden_grid_dims
    .group_segment_fixed_size: 0
    .kernarg_segment_align: 8
    .kernarg_segment_size: 272
    .language:       OpenCL C
    .language_version:
      - 2
      - 0
    .max_flat_workgroup_size: 1024
    .name:           _Z4icndPfjj
    .private_segment_fixed_size: 0
    .sgpr_count:     20
    .sgpr_spill_count: 0
    .symbol:         _Z4icndPfjj.kd
    .uniform_work_group_size: 1
    .uses_dynamic_stack: false
    .vgpr_count:     23
    .vgpr_spill_count: 0
    .wavefront_size: 64
amdhsa.target:   amdgcn-amd-amdhsa--gfx906
amdhsa.version:
  - 1
  - 2
...

	.end_amdgpu_metadata
